;; amdgpu-corpus repo=ROCm/rocFFT kind=compiled arch=gfx1100 opt=O3
	.text
	.amdgcn_target "amdgcn-amd-amdhsa--gfx1100"
	.amdhsa_code_object_version 6
	.protected	fft_rtc_fwd_len1386_factors_2_7_3_11_3_wgs_231_tpt_231_halfLds_dp_op_CI_CI_unitstride_sbrr_R2C_dirReg ; -- Begin function fft_rtc_fwd_len1386_factors_2_7_3_11_3_wgs_231_tpt_231_halfLds_dp_op_CI_CI_unitstride_sbrr_R2C_dirReg
	.globl	fft_rtc_fwd_len1386_factors_2_7_3_11_3_wgs_231_tpt_231_halfLds_dp_op_CI_CI_unitstride_sbrr_R2C_dirReg
	.p2align	8
	.type	fft_rtc_fwd_len1386_factors_2_7_3_11_3_wgs_231_tpt_231_halfLds_dp_op_CI_CI_unitstride_sbrr_R2C_dirReg,@function
fft_rtc_fwd_len1386_factors_2_7_3_11_3_wgs_231_tpt_231_halfLds_dp_op_CI_CI_unitstride_sbrr_R2C_dirReg: ; @fft_rtc_fwd_len1386_factors_2_7_3_11_3_wgs_231_tpt_231_halfLds_dp_op_CI_CI_unitstride_sbrr_R2C_dirReg
; %bb.0:
	s_clause 0x2
	s_load_b128 s[8:11], s[0:1], 0x0
	s_load_b128 s[4:7], s[0:1], 0x58
	;; [unrolled: 1-line block ×3, first 2 shown]
	v_mul_u32_u24_e32 v1, 0x11c, v0
	v_mov_b32_e32 v3, 0
	s_delay_alu instid0(VALU_DEP_2) | instskip(NEXT) | instid1(VALU_DEP_1)
	v_lshrrev_b32_e32 v1, 16, v1
	v_add_nc_u32_e32 v5, s15, v1
	v_mov_b32_e32 v1, 0
	v_mov_b32_e32 v2, 0
	;; [unrolled: 1-line block ×3, first 2 shown]
	s_waitcnt lgkmcnt(0)
	v_cmp_lt_u64_e64 s2, s[10:11], 2
	s_delay_alu instid0(VALU_DEP_1)
	s_and_b32 vcc_lo, exec_lo, s2
	s_cbranch_vccnz .LBB0_8
; %bb.1:
	s_load_b64 s[2:3], s[0:1], 0x10
	v_mov_b32_e32 v1, 0
	v_mov_b32_e32 v2, 0
	s_add_u32 s12, s18, 8
	s_addc_u32 s13, s19, 0
	s_add_u32 s14, s16, 8
	s_addc_u32 s15, s17, 0
	v_dual_mov_b32 v81, v2 :: v_dual_mov_b32 v80, v1
	s_mov_b64 s[22:23], 1
	s_waitcnt lgkmcnt(0)
	s_add_u32 s20, s2, 8
	s_addc_u32 s21, s3, 0
.LBB0_2:                                ; =>This Inner Loop Header: Depth=1
	s_load_b64 s[24:25], s[20:21], 0x0
                                        ; implicit-def: $vgpr82_vgpr83
	s_mov_b32 s2, exec_lo
	s_waitcnt lgkmcnt(0)
	v_or_b32_e32 v4, s25, v6
	s_delay_alu instid0(VALU_DEP_1)
	v_cmpx_ne_u64_e32 0, v[3:4]
	s_xor_b32 s3, exec_lo, s2
	s_cbranch_execz .LBB0_4
; %bb.3:                                ;   in Loop: Header=BB0_2 Depth=1
	v_cvt_f32_u32_e32 v4, s24
	v_cvt_f32_u32_e32 v7, s25
	s_sub_u32 s2, 0, s24
	s_subb_u32 s26, 0, s25
	s_delay_alu instid0(VALU_DEP_1) | instskip(NEXT) | instid1(VALU_DEP_1)
	v_fmac_f32_e32 v4, 0x4f800000, v7
	v_rcp_f32_e32 v4, v4
	s_waitcnt_depctr 0xfff
	v_mul_f32_e32 v4, 0x5f7ffffc, v4
	s_delay_alu instid0(VALU_DEP_1) | instskip(NEXT) | instid1(VALU_DEP_1)
	v_mul_f32_e32 v7, 0x2f800000, v4
	v_trunc_f32_e32 v7, v7
	s_delay_alu instid0(VALU_DEP_1) | instskip(SKIP_1) | instid1(VALU_DEP_2)
	v_fmac_f32_e32 v4, 0xcf800000, v7
	v_cvt_u32_f32_e32 v7, v7
	v_cvt_u32_f32_e32 v4, v4
	s_delay_alu instid0(VALU_DEP_2) | instskip(NEXT) | instid1(VALU_DEP_2)
	v_mul_lo_u32 v8, s2, v7
	v_mul_hi_u32 v9, s2, v4
	v_mul_lo_u32 v10, s26, v4
	s_delay_alu instid0(VALU_DEP_2) | instskip(SKIP_1) | instid1(VALU_DEP_2)
	v_add_nc_u32_e32 v8, v9, v8
	v_mul_lo_u32 v9, s2, v4
	v_add_nc_u32_e32 v8, v8, v10
	s_delay_alu instid0(VALU_DEP_2) | instskip(NEXT) | instid1(VALU_DEP_2)
	v_mul_hi_u32 v10, v4, v9
	v_mul_lo_u32 v11, v4, v8
	v_mul_hi_u32 v12, v4, v8
	v_mul_hi_u32 v13, v7, v9
	v_mul_lo_u32 v9, v7, v9
	v_mul_hi_u32 v14, v7, v8
	v_mul_lo_u32 v8, v7, v8
	v_add_co_u32 v10, vcc_lo, v10, v11
	v_add_co_ci_u32_e32 v11, vcc_lo, 0, v12, vcc_lo
	s_delay_alu instid0(VALU_DEP_2) | instskip(NEXT) | instid1(VALU_DEP_2)
	v_add_co_u32 v9, vcc_lo, v10, v9
	v_add_co_ci_u32_e32 v9, vcc_lo, v11, v13, vcc_lo
	v_add_co_ci_u32_e32 v10, vcc_lo, 0, v14, vcc_lo
	s_delay_alu instid0(VALU_DEP_2) | instskip(NEXT) | instid1(VALU_DEP_2)
	v_add_co_u32 v8, vcc_lo, v9, v8
	v_add_co_ci_u32_e32 v9, vcc_lo, 0, v10, vcc_lo
	s_delay_alu instid0(VALU_DEP_2) | instskip(NEXT) | instid1(VALU_DEP_2)
	v_add_co_u32 v4, vcc_lo, v4, v8
	v_add_co_ci_u32_e32 v7, vcc_lo, v7, v9, vcc_lo
	s_delay_alu instid0(VALU_DEP_2) | instskip(SKIP_1) | instid1(VALU_DEP_3)
	v_mul_hi_u32 v8, s2, v4
	v_mul_lo_u32 v10, s26, v4
	v_mul_lo_u32 v9, s2, v7
	s_delay_alu instid0(VALU_DEP_1) | instskip(SKIP_1) | instid1(VALU_DEP_2)
	v_add_nc_u32_e32 v8, v8, v9
	v_mul_lo_u32 v9, s2, v4
	v_add_nc_u32_e32 v8, v8, v10
	s_delay_alu instid0(VALU_DEP_2) | instskip(NEXT) | instid1(VALU_DEP_2)
	v_mul_hi_u32 v10, v4, v9
	v_mul_lo_u32 v11, v4, v8
	v_mul_hi_u32 v12, v4, v8
	v_mul_hi_u32 v13, v7, v9
	v_mul_lo_u32 v9, v7, v9
	v_mul_hi_u32 v14, v7, v8
	v_mul_lo_u32 v8, v7, v8
	v_add_co_u32 v10, vcc_lo, v10, v11
	v_add_co_ci_u32_e32 v11, vcc_lo, 0, v12, vcc_lo
	s_delay_alu instid0(VALU_DEP_2) | instskip(NEXT) | instid1(VALU_DEP_2)
	v_add_co_u32 v9, vcc_lo, v10, v9
	v_add_co_ci_u32_e32 v9, vcc_lo, v11, v13, vcc_lo
	v_add_co_ci_u32_e32 v10, vcc_lo, 0, v14, vcc_lo
	s_delay_alu instid0(VALU_DEP_2) | instskip(NEXT) | instid1(VALU_DEP_2)
	v_add_co_u32 v8, vcc_lo, v9, v8
	v_add_co_ci_u32_e32 v9, vcc_lo, 0, v10, vcc_lo
	s_delay_alu instid0(VALU_DEP_2) | instskip(NEXT) | instid1(VALU_DEP_2)
	v_add_co_u32 v4, vcc_lo, v4, v8
	v_add_co_ci_u32_e32 v13, vcc_lo, v7, v9, vcc_lo
	s_delay_alu instid0(VALU_DEP_2) | instskip(SKIP_1) | instid1(VALU_DEP_3)
	v_mul_hi_u32 v14, v5, v4
	v_mad_u64_u32 v[9:10], null, v6, v4, 0
	v_mad_u64_u32 v[7:8], null, v5, v13, 0
	;; [unrolled: 1-line block ×3, first 2 shown]
	s_delay_alu instid0(VALU_DEP_2) | instskip(NEXT) | instid1(VALU_DEP_3)
	v_add_co_u32 v4, vcc_lo, v14, v7
	v_add_co_ci_u32_e32 v7, vcc_lo, 0, v8, vcc_lo
	s_delay_alu instid0(VALU_DEP_2) | instskip(NEXT) | instid1(VALU_DEP_2)
	v_add_co_u32 v4, vcc_lo, v4, v9
	v_add_co_ci_u32_e32 v4, vcc_lo, v7, v10, vcc_lo
	v_add_co_ci_u32_e32 v7, vcc_lo, 0, v12, vcc_lo
	s_delay_alu instid0(VALU_DEP_2) | instskip(NEXT) | instid1(VALU_DEP_2)
	v_add_co_u32 v4, vcc_lo, v4, v11
	v_add_co_ci_u32_e32 v9, vcc_lo, 0, v7, vcc_lo
	s_delay_alu instid0(VALU_DEP_2) | instskip(SKIP_1) | instid1(VALU_DEP_3)
	v_mul_lo_u32 v10, s25, v4
	v_mad_u64_u32 v[7:8], null, s24, v4, 0
	v_mul_lo_u32 v11, s24, v9
	s_delay_alu instid0(VALU_DEP_2) | instskip(NEXT) | instid1(VALU_DEP_2)
	v_sub_co_u32 v7, vcc_lo, v5, v7
	v_add3_u32 v8, v8, v11, v10
	s_delay_alu instid0(VALU_DEP_1) | instskip(NEXT) | instid1(VALU_DEP_1)
	v_sub_nc_u32_e32 v10, v6, v8
	v_subrev_co_ci_u32_e64 v10, s2, s25, v10, vcc_lo
	v_add_co_u32 v11, s2, v4, 2
	s_delay_alu instid0(VALU_DEP_1) | instskip(SKIP_3) | instid1(VALU_DEP_3)
	v_add_co_ci_u32_e64 v12, s2, 0, v9, s2
	v_sub_co_u32 v13, s2, v7, s24
	v_sub_co_ci_u32_e32 v8, vcc_lo, v6, v8, vcc_lo
	v_subrev_co_ci_u32_e64 v10, s2, 0, v10, s2
	v_cmp_le_u32_e32 vcc_lo, s24, v13
	s_delay_alu instid0(VALU_DEP_3) | instskip(SKIP_1) | instid1(VALU_DEP_4)
	v_cmp_eq_u32_e64 s2, s25, v8
	v_cndmask_b32_e64 v13, 0, -1, vcc_lo
	v_cmp_le_u32_e32 vcc_lo, s25, v10
	v_cndmask_b32_e64 v14, 0, -1, vcc_lo
	v_cmp_le_u32_e32 vcc_lo, s24, v7
	;; [unrolled: 2-line block ×3, first 2 shown]
	v_cndmask_b32_e64 v15, 0, -1, vcc_lo
	v_cmp_eq_u32_e32 vcc_lo, s25, v10
	s_delay_alu instid0(VALU_DEP_2) | instskip(SKIP_3) | instid1(VALU_DEP_3)
	v_cndmask_b32_e64 v7, v15, v7, s2
	v_cndmask_b32_e32 v10, v14, v13, vcc_lo
	v_add_co_u32 v13, vcc_lo, v4, 1
	v_add_co_ci_u32_e32 v14, vcc_lo, 0, v9, vcc_lo
	v_cmp_ne_u32_e32 vcc_lo, 0, v10
	s_delay_alu instid0(VALU_DEP_2) | instskip(NEXT) | instid1(VALU_DEP_4)
	v_cndmask_b32_e32 v8, v14, v12, vcc_lo
	v_cndmask_b32_e32 v10, v13, v11, vcc_lo
	v_cmp_ne_u32_e32 vcc_lo, 0, v7
	s_delay_alu instid0(VALU_DEP_2)
	v_dual_cndmask_b32 v83, v9, v8 :: v_dual_cndmask_b32 v82, v4, v10
.LBB0_4:                                ;   in Loop: Header=BB0_2 Depth=1
	s_and_not1_saveexec_b32 s2, s3
	s_cbranch_execz .LBB0_6
; %bb.5:                                ;   in Loop: Header=BB0_2 Depth=1
	v_cvt_f32_u32_e32 v4, s24
	s_sub_i32 s3, 0, s24
	v_mov_b32_e32 v83, v3
	s_delay_alu instid0(VALU_DEP_2) | instskip(SKIP_2) | instid1(VALU_DEP_1)
	v_rcp_iflag_f32_e32 v4, v4
	s_waitcnt_depctr 0xfff
	v_mul_f32_e32 v4, 0x4f7ffffe, v4
	v_cvt_u32_f32_e32 v4, v4
	s_delay_alu instid0(VALU_DEP_1) | instskip(NEXT) | instid1(VALU_DEP_1)
	v_mul_lo_u32 v7, s3, v4
	v_mul_hi_u32 v7, v4, v7
	s_delay_alu instid0(VALU_DEP_1) | instskip(NEXT) | instid1(VALU_DEP_1)
	v_add_nc_u32_e32 v4, v4, v7
	v_mul_hi_u32 v4, v5, v4
	s_delay_alu instid0(VALU_DEP_1) | instskip(SKIP_1) | instid1(VALU_DEP_2)
	v_mul_lo_u32 v7, v4, s24
	v_add_nc_u32_e32 v8, 1, v4
	v_sub_nc_u32_e32 v7, v5, v7
	s_delay_alu instid0(VALU_DEP_1) | instskip(SKIP_1) | instid1(VALU_DEP_2)
	v_subrev_nc_u32_e32 v9, s24, v7
	v_cmp_le_u32_e32 vcc_lo, s24, v7
	v_dual_cndmask_b32 v7, v7, v9 :: v_dual_cndmask_b32 v4, v4, v8
	s_delay_alu instid0(VALU_DEP_1) | instskip(NEXT) | instid1(VALU_DEP_2)
	v_cmp_le_u32_e32 vcc_lo, s24, v7
	v_add_nc_u32_e32 v8, 1, v4
	s_delay_alu instid0(VALU_DEP_1)
	v_cndmask_b32_e32 v82, v4, v8, vcc_lo
.LBB0_6:                                ;   in Loop: Header=BB0_2 Depth=1
	s_or_b32 exec_lo, exec_lo, s2
	s_delay_alu instid0(VALU_DEP_1) | instskip(NEXT) | instid1(VALU_DEP_2)
	v_mul_lo_u32 v4, v83, s24
	v_mul_lo_u32 v9, v82, s25
	s_load_b64 s[2:3], s[14:15], 0x0
	v_mad_u64_u32 v[7:8], null, v82, s24, 0
	s_load_b64 s[24:25], s[12:13], 0x0
	s_add_u32 s22, s22, 1
	s_addc_u32 s23, s23, 0
	s_add_u32 s12, s12, 8
	s_addc_u32 s13, s13, 0
	s_add_u32 s14, s14, 8
	s_delay_alu instid0(VALU_DEP_1) | instskip(SKIP_3) | instid1(VALU_DEP_2)
	v_add3_u32 v4, v8, v9, v4
	v_sub_co_u32 v8, vcc_lo, v5, v7
	s_addc_u32 s15, s15, 0
	s_add_u32 s20, s20, 8
	v_sub_co_ci_u32_e32 v6, vcc_lo, v6, v4, vcc_lo
	s_addc_u32 s21, s21, 0
	s_waitcnt lgkmcnt(0)
	s_delay_alu instid0(VALU_DEP_1)
	v_mul_lo_u32 v9, s2, v6
	v_mul_lo_u32 v10, s3, v8
	v_mad_u64_u32 v[4:5], null, s2, v8, v[1:2]
	v_mul_lo_u32 v11, s24, v6
	v_mul_lo_u32 v12, s25, v8
	v_mad_u64_u32 v[6:7], null, s24, v8, v[80:81]
	v_cmp_ge_u64_e64 s2, s[22:23], s[10:11]
	v_add3_u32 v2, v10, v5, v9
	s_delay_alu instid0(VALU_DEP_3) | instskip(NEXT) | instid1(VALU_DEP_4)
	v_dual_mov_b32 v1, v4 :: v_dual_mov_b32 v80, v6
	v_add3_u32 v81, v12, v7, v11
	s_delay_alu instid0(VALU_DEP_4)
	s_and_b32 vcc_lo, exec_lo, s2
	s_cbranch_vccnz .LBB0_9
; %bb.7:                                ;   in Loop: Header=BB0_2 Depth=1
	v_dual_mov_b32 v5, v82 :: v_dual_mov_b32 v6, v83
	s_branch .LBB0_2
.LBB0_8:
	v_dual_mov_b32 v81, v2 :: v_dual_mov_b32 v80, v1
	v_dual_mov_b32 v83, v6 :: v_dual_mov_b32 v82, v5
.LBB0_9:
	s_load_b64 s[0:1], s[0:1], 0x28
	v_mul_hi_u32 v3, 0x11bb4a5, v0
	s_lshl_b64 s[10:11], s[10:11], 3
                                        ; implicit-def: $vgpr84
                                        ; implicit-def: $vgpr86
                                        ; implicit-def: $vgpr88
	s_delay_alu instid0(SALU_CYCLE_1) | instskip(SKIP_4) | instid1(VALU_DEP_1)
	s_add_u32 s2, s18, s10
	s_addc_u32 s3, s19, s11
	s_waitcnt lgkmcnt(0)
	v_cmp_gt_u64_e32 vcc_lo, s[0:1], v[82:83]
	v_cmp_le_u64_e64 s0, s[0:1], v[82:83]
	s_and_saveexec_b32 s1, s0
	s_delay_alu instid0(SALU_CYCLE_1)
	s_xor_b32 s0, exec_lo, s1
; %bb.10:
	v_mul_u32_u24_e32 v1, 0xe7, v3
                                        ; implicit-def: $vgpr3
	s_delay_alu instid0(VALU_DEP_1) | instskip(NEXT) | instid1(VALU_DEP_1)
	v_sub_nc_u32_e32 v84, v0, v1
                                        ; implicit-def: $vgpr0
                                        ; implicit-def: $vgpr1_vgpr2
	v_add_nc_u32_e32 v86, 0xe7, v84
	v_add_nc_u32_e32 v88, 0x1ce, v84
; %bb.11:
	s_and_not1_saveexec_b32 s1, s0
	s_cbranch_execz .LBB0_13
; %bb.12:
	s_add_u32 s10, s16, s10
	s_addc_u32 s11, s17, s11
	v_lshlrev_b64 v[1:2], 4, v[1:2]
	s_load_b64 s[10:11], s[10:11], 0x0
	s_waitcnt lgkmcnt(0)
	v_mul_lo_u32 v6, s11, v82
	v_mul_lo_u32 v7, s10, v83
	v_mad_u64_u32 v[4:5], null, s10, v82, 0
	s_delay_alu instid0(VALU_DEP_1) | instskip(SKIP_1) | instid1(VALU_DEP_2)
	v_add3_u32 v5, v5, v7, v6
	v_mul_u32_u24_e32 v6, 0xe7, v3
	v_lshlrev_b64 v[3:4], 4, v[4:5]
	s_delay_alu instid0(VALU_DEP_2) | instskip(NEXT) | instid1(VALU_DEP_1)
	v_sub_nc_u32_e32 v84, v0, v6
	v_lshlrev_b32_e32 v24, 4, v84
	s_delay_alu instid0(VALU_DEP_3) | instskip(NEXT) | instid1(VALU_DEP_1)
	v_add_co_u32 v0, s0, s4, v3
	v_add_co_ci_u32_e64 v3, s0, s5, v4, s0
	v_add_nc_u32_e32 v86, 0xe7, v84
	s_delay_alu instid0(VALU_DEP_3) | instskip(NEXT) | instid1(VALU_DEP_1)
	v_add_co_u32 v0, s0, v0, v1
	v_add_co_ci_u32_e64 v1, s0, v3, v2, s0
	v_add_nc_u32_e32 v88, 0x1ce, v84
	;; [unrolled: 4-line block ×3, first 2 shown]
	s_delay_alu instid0(VALU_DEP_3) | instskip(NEXT) | instid1(VALU_DEP_1)
	v_add_co_u32 v8, s0, 0x1000, v4
	v_add_co_ci_u32_e64 v9, s0, 0, v5, s0
	v_add_co_u32 v12, s0, 0x2000, v4
	s_delay_alu instid0(VALU_DEP_1) | instskip(SKIP_1) | instid1(VALU_DEP_1)
	v_add_co_ci_u32_e64 v13, s0, 0, v5, s0
	v_add_co_u32 v16, s0, 0x3000, v4
	v_add_co_ci_u32_e64 v17, s0, 0, v5, s0
	v_add_co_u32 v20, s0, 0x4000, v4
	s_delay_alu instid0(VALU_DEP_1)
	v_add_co_ci_u32_e64 v21, s0, 0, v5, s0
	s_clause 0x5
	global_load_b128 v[0:3], v[4:5], off
	global_load_b128 v[4:7], v[4:5], off offset:3696
	global_load_b128 v[8:11], v[8:9], off offset:3296
	global_load_b128 v[12:15], v[12:13], off offset:2896
	global_load_b128 v[16:19], v[16:17], off offset:2496
	global_load_b128 v[20:23], v[20:21], off offset:2096
	s_waitcnt vmcnt(5)
	ds_store_b128 v24, v[0:3]
	s_waitcnt vmcnt(4)
	ds_store_b128 v24, v[4:7] offset:3696
	s_waitcnt vmcnt(3)
	ds_store_b128 v24, v[8:11] offset:7392
	;; [unrolled: 2-line block ×5, first 2 shown]
.LBB0_13:
	s_or_b32 exec_lo, exec_lo, s1
	v_lshlrev_b32_e32 v85, 4, v84
	s_load_b64 s[2:3], s[2:3], 0x0
	s_waitcnt lgkmcnt(0)
	s_barrier
	buffer_gl0_inv
	v_add_nc_u32_e32 v91, 0, v85
	v_lshl_add_u32 v87, v88, 5, 0
	v_cmp_gt_u32_e64 s0, 0xc6, v84
	ds_load_b128 v[0:3], v91 offset:11088
	ds_load_b128 v[12:15], v91
	ds_load_b128 v[16:19], v91 offset:3696
	ds_load_b128 v[8:11], v91 offset:14784
	;; [unrolled: 1-line block ×4, first 2 shown]
	s_waitcnt lgkmcnt(0)
	s_barrier
	buffer_gl0_inv
	v_add_f64 v[4:5], v[12:13], -v[0:1]
	v_add_f64 v[6:7], v[14:15], -v[2:3]
	v_add_f64 v[8:9], v[16:17], -v[8:9]
	v_add_f64 v[10:11], v[18:19], -v[10:11]
	v_add_f64 v[20:21], v[24:25], -v[20:21]
	v_add_f64 v[22:23], v[26:27], -v[22:23]
	v_fma_f64 v[0:1], v[12:13], 2.0, -v[4:5]
	v_fma_f64 v[2:3], v[14:15], 2.0, -v[6:7]
	;; [unrolled: 1-line block ×6, first 2 shown]
	v_lshl_add_u32 v24, v86, 5, 0
	v_add_nc_u32_e32 v25, v91, v85
                                        ; implicit-def: $vgpr26_vgpr27
	ds_store_b128 v25, v[0:3]
	ds_store_b128 v25, v[4:7] offset:16
	ds_store_b128 v24, v[12:15]
	ds_store_b128 v24, v[8:11] offset:16
	;; [unrolled: 2-line block ×3, first 2 shown]
	s_waitcnt lgkmcnt(0)
	s_barrier
	buffer_gl0_inv
	s_and_saveexec_b32 s1, s0
	s_cbranch_execz .LBB0_15
; %bb.14:
	ds_load_b128 v[0:3], v91
	ds_load_b128 v[4:7], v91 offset:3168
	ds_load_b128 v[12:15], v91 offset:6336
	;; [unrolled: 1-line block ×6, first 2 shown]
.LBB0_15:
	s_or_b32 exec_lo, exec_lo, s1
	v_and_b32_e32 v56, 1, v84
	s_mov_b32 s4, 0x37e14327
	s_mov_b32 s10, 0xb247c609
	;; [unrolled: 1-line block ×4, first 2 shown]
	v_mul_u32_u24_e32 v28, 6, v56
	s_mov_b32 s12, 0xaaaaaaaa
	s_mov_b32 s13, 0xbff2aaaa
	s_delay_alu instid0(VALU_DEP_1)
	v_lshlrev_b32_e32 v48, 4, v28
	s_clause 0x5
	global_load_b128 v[28:31], v48, s[8:9]
	global_load_b128 v[32:35], v48, s[8:9] offset:16
	global_load_b128 v[36:39], v48, s[8:9] offset:80
	;; [unrolled: 1-line block ×5, first 2 shown]
	s_waitcnt vmcnt(0) lgkmcnt(0)
	s_barrier
	buffer_gl0_inv
	v_mul_f64 v[52:53], v[6:7], v[30:31]
	v_mul_f64 v[30:31], v[4:5], v[30:31]
	;; [unrolled: 1-line block ×12, first 2 shown]
	v_fma_f64 v[4:5], v[4:5], v[28:29], -v[52:53]
	v_fma_f64 v[6:7], v[6:7], v[28:29], v[30:31]
	v_fma_f64 v[28:29], v[12:13], v[32:33], -v[54:55]
	v_fma_f64 v[30:31], v[14:15], v[32:33], v[34:35]
	;; [unrolled: 2-line block ×6, first 2 shown]
	v_add_f64 v[8:9], v[4:5], v[24:25]
	v_add_f64 v[14:15], v[6:7], v[26:27]
	v_add_f64 v[12:13], v[28:29], v[32:33]
	v_add_f64 v[18:19], v[30:31], v[22:23]
	v_add_f64 v[20:21], v[4:5], -v[24:25]
	v_add_f64 v[10:11], v[6:7], -v[26:27]
	v_add_f64 v[4:5], v[34:35], v[16:17]
	v_add_f64 v[6:7], v[36:37], v[38:39]
	v_add_f64 v[24:25], v[16:17], -v[34:35]
	v_add_f64 v[26:27], v[38:39], -v[36:37]
	;; [unrolled: 1-line block ×4, first 2 shown]
	v_add_f64 v[34:35], v[12:13], v[8:9]
	v_add_f64 v[36:37], v[18:19], v[14:15]
	v_add_f64 v[22:23], v[8:9], -v[4:5]
	v_add_f64 v[30:31], v[14:15], -v[6:7]
	;; [unrolled: 1-line block ×7, first 2 shown]
	v_add_f64 v[57:58], v[4:5], v[34:35]
	v_add_f64 v[59:60], v[6:7], v[36:37]
	v_add_f64 v[36:37], v[4:5], -v[12:13]
	v_add_f64 v[4:5], v[24:25], v[28:29]
	v_add_f64 v[6:7], v[26:27], v[16:17]
	v_mul_f64 v[32:33], v[22:23], s[4:5]
	v_mul_f64 v[34:35], v[30:31], s[4:5]
	;; [unrolled: 1-line block ×4, first 2 shown]
	s_mov_b32 s4, 0x36b3c0b5
	s_mov_b32 s10, 0xe976ee23
	;; [unrolled: 1-line block ×4, first 2 shown]
	v_add_f64 v[0:1], v[0:1], v[57:58]
	v_add_f64 v[2:3], v[2:3], v[59:60]
	;; [unrolled: 1-line block ×4, first 2 shown]
	v_fma_f64 v[4:5], v[36:37], s[4:5], v[32:33]
	v_fma_f64 v[6:7], v[40:41], s[4:5], v[34:35]
	;; [unrolled: 1-line block ×6, first 2 shown]
	s_mov_b32 s12, 0x37c3f68c
	s_mov_b32 s13, 0x3fdc38aa
	s_delay_alu instid0(VALU_DEP_4) | instid1(SALU_CYCLE_1)
	v_fma_f64 v[26:27], v[52:53], s[12:13], v[22:23]
	s_delay_alu instid0(VALU_DEP_4) | instskip(NEXT) | instid1(VALU_DEP_4)
	v_fma_f64 v[22:23], v[54:55], s[12:13], v[24:25]
	v_add_f64 v[24:25], v[4:5], v[38:39]
	s_delay_alu instid0(VALU_DEP_4) | instskip(NEXT) | instid1(VALU_DEP_2)
	v_add_f64 v[30:31], v[6:7], v[46:47]
	v_add_f64 v[4:5], v[24:25], -v[22:23]
	s_delay_alu instid0(VALU_DEP_2)
	v_add_f64 v[6:7], v[26:27], v[30:31]
	s_and_saveexec_b32 s1, s0
	s_cbranch_execz .LBB0_17
; %bb.16:
	v_add_f64 v[20:21], v[28:29], -v[20:21]
	v_add_f64 v[14:15], v[18:19], -v[14:15]
	;; [unrolled: 1-line block ×4, first 2 shown]
	v_mul_f64 v[12:13], v[40:41], s[4:5]
	v_mul_f64 v[16:17], v[42:43], s[10:11]
	v_mul_f64 v[18:19], v[44:45], s[10:11]
	v_mul_f64 v[28:29], v[36:37], s[4:5]
	s_mov_b32 s5, 0xbfebfeb5
	s_mov_b32 s4, 0x429ad128
	;; [unrolled: 1-line block ×4, first 2 shown]
	v_mul_f64 v[36:37], v[52:53], s[12:13]
	v_mul_f64 v[40:41], v[54:55], s[12:13]
	v_fma_f64 v[42:43], v[20:21], s[4:5], -v[50:51]
	v_fma_f64 v[34:35], v[14:15], s[10:11], -v[34:35]
	;; [unrolled: 1-line block ×4, first 2 shown]
	s_mov_b32 s11, 0x3fe77f67
	s_mov_b32 s5, 0x3febfeb5
	v_fma_f64 v[12:13], v[14:15], s[10:11], -v[12:13]
	v_fma_f64 v[14:15], v[20:21], s[4:5], -v[16:17]
	;; [unrolled: 1-line block ×4, first 2 shown]
	v_add_f64 v[16:17], v[36:37], v[42:43]
	v_add_f64 v[18:19], v[34:35], v[46:47]
	;; [unrolled: 1-line block ×8, first 2 shown]
	v_add_f64 v[10:11], v[30:31], -v[26:27]
	v_add_f64 v[8:9], v[22:23], v[24:25]
	v_add_f64 v[14:15], v[16:17], v[18:19]
	v_add_f64 v[18:19], v[18:19], -v[16:17]
	v_add_f64 v[16:17], v[32:33], v[28:29]
	v_add_f64 v[26:27], v[20:21], v[12:13]
	v_add_f64 v[22:23], v[12:13], -v[20:21]
	v_add_f64 v[24:25], v[36:37], -v[34:35]
	v_add_f64 v[20:21], v[34:35], v[36:37]
	v_add_f64 v[12:13], v[28:29], -v[32:33]
	v_lshrrev_b32_e32 v28, 1, v84
	s_delay_alu instid0(VALU_DEP_1) | instskip(NEXT) | instid1(VALU_DEP_1)
	v_mul_u32_u24_e32 v28, 14, v28
	v_or_b32_e32 v28, v28, v56
	s_delay_alu instid0(VALU_DEP_1)
	v_lshl_add_u32 v28, v28, 4, 0
	ds_store_b128 v28, v[0:3]
	ds_store_b128 v28, v[8:11] offset:32
	ds_store_b128 v28, v[16:19] offset:64
	;; [unrolled: 1-line block ×6, first 2 shown]
.LBB0_17:
	s_or_b32 exec_lo, exec_lo, s1
	v_lshrrev_b16 v0, 1, v84
	v_lshrrev_b16 v1, 1, v86
	s_waitcnt lgkmcnt(0)
	s_barrier
	buffer_gl0_inv
	v_and_b32_e32 v40, 0x7f, v0
	v_and_b32_e32 v0, 0xffff, v1
	v_lshlrev_b32_e32 v41, 4, v88
	v_lshl_add_u32 v92, v86, 4, 0
	s_mov_b32 s0, 0xe8584caa
	v_mul_lo_u16 v1, 0x93, v40
	v_mul_u32_u24_e32 v0, 0x4925, v0
	v_sub_nc_u32_e32 v20, v87, v41
	s_mov_b32 s1, 0x3febb67a
	s_mov_b32 s5, 0xbfebb67a
	v_lshrrev_b16 v52, 10, v1
	v_lshrrev_b32_e32 v53, 17, v0
	s_mov_b32 s4, s0
	s_delay_alu instid0(VALU_DEP_2) | instskip(NEXT) | instid1(VALU_DEP_2)
	v_mul_lo_u16 v0, v52, 14
	v_mul_lo_u16 v1, v53, 14
	s_delay_alu instid0(VALU_DEP_2) | instskip(NEXT) | instid1(VALU_DEP_2)
	v_sub_nc_u16 v0, v84, v0
	v_sub_nc_u16 v1, v86, v1
	s_delay_alu instid0(VALU_DEP_2) | instskip(NEXT) | instid1(VALU_DEP_2)
	v_and_b32_e32 v54, 0xff, v0
	v_and_b32_e32 v55, 0xffff, v1
	s_delay_alu instid0(VALU_DEP_2) | instskip(NEXT) | instid1(VALU_DEP_2)
	v_lshlrev_b32_e32 v8, 5, v54
	v_lshlrev_b32_e32 v16, 5, v55
	s_clause 0x3
	global_load_b128 v[0:3], v8, s[8:9] offset:192
	global_load_b128 v[8:11], v8, s[8:9] offset:208
	;; [unrolled: 1-line block ×4, first 2 shown]
	ds_load_b128 v[20:23], v20
	ds_load_b128 v[24:27], v91 offset:14784
	ds_load_b128 v[28:31], v91 offset:11088
	;; [unrolled: 1-line block ×3, first 2 shown]
	ds_load_b128 v[36:39], v92
	s_waitcnt vmcnt(3) lgkmcnt(4)
	v_mul_f64 v[42:43], v[22:23], v[2:3]
	s_waitcnt vmcnt(2) lgkmcnt(3)
	v_mul_f64 v[44:45], v[26:27], v[10:11]
	v_mul_f64 v[2:3], v[20:21], v[2:3]
	;; [unrolled: 1-line block ×3, first 2 shown]
	s_waitcnt vmcnt(1) lgkmcnt(2)
	v_mul_f64 v[46:47], v[30:31], v[14:15]
	s_waitcnt vmcnt(0) lgkmcnt(1)
	v_mul_f64 v[48:49], v[34:35], v[18:19]
	v_mul_f64 v[14:15], v[28:29], v[14:15]
	;; [unrolled: 1-line block ×3, first 2 shown]
	v_fma_f64 v[20:21], v[20:21], v[0:1], -v[42:43]
	v_fma_f64 v[24:25], v[24:25], v[8:9], -v[44:45]
	v_fma_f64 v[22:23], v[22:23], v[0:1], v[2:3]
	ds_load_b128 v[0:3], v91
	v_fma_f64 v[8:9], v[26:27], v[8:9], v[10:11]
	v_fma_f64 v[10:11], v[28:29], v[12:13], -v[46:47]
	v_fma_f64 v[26:27], v[32:33], v[16:17], -v[48:49]
	v_fma_f64 v[12:13], v[30:31], v[12:13], v[14:15]
	v_fma_f64 v[14:15], v[34:35], v[16:17], v[18:19]
	s_waitcnt lgkmcnt(0)
	s_barrier
	buffer_gl0_inv
	v_add_f64 v[32:33], v[0:1], v[20:21]
	v_add_f64 v[16:17], v[20:21], v[24:25]
	v_add_f64 v[20:21], v[20:21], -v[24:25]
	v_add_f64 v[18:19], v[22:23], v[8:9]
	v_add_f64 v[34:35], v[22:23], -v[8:9]
	v_add_f64 v[28:29], v[10:11], v[26:27]
	v_add_f64 v[22:23], v[2:3], v[22:23]
	;; [unrolled: 1-line block ×5, first 2 shown]
	v_add_f64 v[46:47], v[12:13], -v[14:15]
	v_fma_f64 v[16:17], v[16:17], -0.5, v[0:1]
	v_add_f64 v[0:1], v[32:33], v[24:25]
	v_and_b32_e32 v24, 0xffff, v52
	v_fma_f64 v[18:19], v[18:19], -0.5, v[2:3]
	v_lshlrev_b32_e32 v25, 4, v54
	v_fma_f64 v[28:29], v[28:29], -0.5, v[36:37]
	v_add_f64 v[36:37], v[10:11], -v[26:27]
	v_fma_f64 v[30:31], v[30:31], -0.5, v[38:39]
	v_add_f64 v[2:3], v[22:23], v[8:9]
	v_add_f64 v[8:9], v[42:43], v[26:27]
	;; [unrolled: 1-line block ×3, first 2 shown]
	v_mul_u32_u24_e32 v24, 0x2a0, v24
	v_mul_u32_u24_e32 v26, 0x2a0, v53
	v_lshlrev_b32_e32 v27, 4, v55
                                        ; implicit-def: $vgpr38_vgpr39
	s_delay_alu instid0(VALU_DEP_3) | instskip(NEXT) | instid1(VALU_DEP_2)
	v_add3_u32 v24, 0, v24, v25
	v_add3_u32 v25, 0, v26, v27
                                        ; implicit-def: $vgpr26_vgpr27
	v_fma_f64 v[48:49], v[34:35], s[0:1], v[16:17]
	v_fma_f64 v[12:13], v[34:35], s[4:5], v[16:17]
                                        ; implicit-def: $vgpr34_vgpr35
	v_fma_f64 v[50:51], v[20:21], s[4:5], v[18:19]
	v_fma_f64 v[14:15], v[20:21], s[0:1], v[18:19]
	;; [unrolled: 1-line block ×6, first 2 shown]
	v_cmp_gt_u32_e64 s0, 0x7e, v84
                                        ; implicit-def: $vgpr30_vgpr31
	ds_store_b128 v24, v[0:3]
	ds_store_b128 v24, v[48:51] offset:224
	ds_store_b128 v24, v[12:15] offset:448
	ds_store_b128 v25, v[8:11]
	ds_store_b128 v25, v[16:19] offset:224
	ds_store_b128 v25, v[20:23] offset:448
	s_waitcnt lgkmcnt(0)
	s_barrier
	buffer_gl0_inv
	s_and_saveexec_b32 s1, s0
	s_cbranch_execz .LBB0_19
; %bb.18:
	ds_load_b128 v[0:3], v91
	ds_load_b128 v[48:51], v91 offset:2016
	ds_load_b128 v[12:15], v91 offset:4032
	;; [unrolled: 1-line block ×10, first 2 shown]
.LBB0_19:
	s_or_b32 exec_lo, exec_lo, s1
	v_lshlrev_b32_e32 v89, 1, v86
	v_sub_nc_u32_e32 v93, 0, v41
	s_waitcnt lgkmcnt(0)
	s_barrier
	buffer_gl0_inv
	s_and_saveexec_b32 s33, s0
	s_cbranch_execz .LBB0_21
; %bb.20:
	v_mul_lo_u16 v40, v40, 49
	s_mov_b32 s0, 0x640f44db
	s_mov_b32 s10, 0xd9c712b6
	;; [unrolled: 1-line block ×4, first 2 shown]
	v_lshrrev_b16 v90, 10, v40
	s_mov_b32 s18, 0xbb3a28a1
	s_mov_b32 s16, 0x9bcd5057
	;; [unrolled: 1-line block ×4, first 2 shown]
	v_mul_lo_u16 v40, v90, 42
	s_mov_b32 s4, 0x43842ef
	s_mov_b32 s11, 0x3fda9628
	;; [unrolled: 1-line block ×4, first 2 shown]
	v_sub_nc_u16 v40, v84, v40
	s_mov_b32 s19, 0x3fe82f19
	s_mov_b32 s17, 0xbfeeb42a
	;; [unrolled: 1-line block ×4, first 2 shown]
	v_and_b32_e32 v94, 0xff, v40
	s_mov_b32 s23, 0xbfd207e7
	s_mov_b32 s24, s18
	;; [unrolled: 1-line block ×4, first 2 shown]
	v_mul_u32_u24_e32 v40, 10, v94
	s_mov_b32 s29, 0xbfefac9e
	s_mov_b32 s28, s4
	;; [unrolled: 1-line block ×4, first 2 shown]
	v_lshlrev_b32_e32 v72, 4, v40
	s_mov_b32 s15, 0x3feaeb8c
	s_mov_b32 s27, 0xbfe14ced
	;; [unrolled: 1-line block ×4, first 2 shown]
	s_clause 0x9
	global_load_b128 v[95:98], v72, s[8:9] offset:640
	global_load_b128 v[40:43], v72, s[8:9] offset:784
	;; [unrolled: 1-line block ×10, first 2 shown]
	s_mov_b32 s36, s30
	s_mov_b32 s34, s26
	s_waitcnt vmcnt(9)
	v_mul_f64 v[99:100], v[48:49], v[97:98]
	v_mul_f64 v[97:98], v[50:51], v[97:98]
	s_waitcnt vmcnt(8)
	v_mul_f64 v[101:102], v[36:37], v[42:43]
	s_waitcnt vmcnt(7)
	;; [unrolled: 2-line block ×3, first 2 shown]
	v_mul_f64 v[107:108], v[12:13], v[78:79]
	v_mul_f64 v[78:79], v[14:15], v[78:79]
	;; [unrolled: 1-line block ×4, first 2 shown]
	s_waitcnt vmcnt(1)
	v_mul_f64 v[109:110], v[28:29], v[62:63]
	v_mul_f64 v[42:43], v[38:39], v[42:43]
	;; [unrolled: 1-line block ×3, first 2 shown]
	s_waitcnt vmcnt(0)
	v_mul_f64 v[111:112], v[32:33], v[74:75]
	v_mul_f64 v[62:63], v[30:31], v[62:63]
	;; [unrolled: 1-line block ×3, first 2 shown]
	v_fma_f64 v[50:51], v[50:51], v[95:96], v[99:100]
	v_fma_f64 v[48:49], v[48:49], v[95:96], -v[97:98]
	v_mul_f64 v[95:96], v[16:17], v[70:71]
	v_mul_f64 v[99:100], v[8:9], v[58:59]
	;; [unrolled: 1-line block ×3, first 2 shown]
	v_fma_f64 v[38:39], v[38:39], v[40:41], v[101:102]
	v_fma_f64 v[22:23], v[22:23], v[52:53], v[103:104]
	;; [unrolled: 1-line block ×3, first 2 shown]
	v_fma_f64 v[76:77], v[12:13], v[76:77], -v[78:79]
	v_mul_f64 v[97:98], v[24:25], v[66:67]
	v_mul_f64 v[70:71], v[18:19], v[70:71]
	;; [unrolled: 1-line block ×3, first 2 shown]
	v_fma_f64 v[12:13], v[30:31], v[60:61], v[109:110]
	v_fma_f64 v[30:31], v[4:5], v[44:45], -v[46:47]
	v_fma_f64 v[4:5], v[34:35], v[72:73], v[111:112]
	v_fma_f64 v[14:15], v[28:29], v[60:61], -v[62:63]
	;; [unrolled: 2-line block ×3, first 2 shown]
	v_add_f64 v[78:79], v[2:3], v[50:51]
	v_add_f64 v[103:104], v[0:1], v[48:49]
	v_fma_f64 v[18:19], v[18:19], v[68:69], v[95:96]
	v_fma_f64 v[95:96], v[10:11], v[56:57], v[99:100]
	v_fma_f64 v[10:11], v[36:37], v[40:41], -v[42:43]
	v_fma_f64 v[34:35], v[8:9], v[56:57], -v[58:59]
	;; [unrolled: 1-line block ×3, first 2 shown]
	v_add_f64 v[28:29], v[50:51], v[38:39]
	v_add_f64 v[32:33], v[50:51], -v[38:39]
	v_fma_f64 v[26:27], v[26:27], v[64:65], v[97:98]
	v_fma_f64 v[16:17], v[16:17], v[68:69], -v[70:71]
	v_fma_f64 v[24:25], v[24:25], v[64:65], -v[66:67]
	v_add_f64 v[52:53], v[101:102], v[4:5]
	v_add_f64 v[62:63], v[101:102], -v[4:5]
	v_add_f64 v[70:71], v[22:23], -v[6:7]
	v_add_f64 v[36:37], v[22:23], v[6:7]
	v_add_f64 v[54:55], v[20:21], -v[30:31]
	v_add_f64 v[72:73], v[20:21], v[30:31]
	v_add_f64 v[40:41], v[78:79], v[101:102]
	;; [unrolled: 1-line block ×4, first 2 shown]
	v_add_f64 v[50:51], v[48:49], -v[10:11]
	v_add_f64 v[58:59], v[34:35], -v[14:15]
	v_add_f64 v[68:69], v[34:35], v[14:15]
	v_add_f64 v[48:49], v[48:49], v[10:11]
	v_mul_f64 v[78:79], v[28:29], s[16:17]
	v_mul_f64 v[97:98], v[32:33], s[22:23]
	;; [unrolled: 1-line block ×10, first 2 shown]
	v_add_f64 v[44:45], v[18:19], v[26:27]
	v_add_f64 v[56:57], v[16:17], -v[24:25]
	v_add_f64 v[60:61], v[76:77], -v[8:9]
	v_add_f64 v[64:65], v[76:77], v[8:9]
	v_add_f64 v[74:75], v[18:19], -v[26:27]
	v_add_f64 v[76:77], v[16:17], v[24:25]
	v_add_f64 v[66:67], v[95:96], -v[12:13]
	v_mul_f64 v[129:130], v[52:53], s[14:15]
	v_mul_f64 v[131:132], v[52:53], s[0:1]
	;; [unrolled: 1-line block ×13, first 2 shown]
	v_add_f64 v[40:41], v[40:41], v[95:96]
	v_add_f64 v[34:35], v[42:43], v[34:35]
	v_mul_f64 v[62:63], v[62:63], s[30:31]
	v_mul_f64 v[121:122], v[46:47], s[12:13]
	;; [unrolled: 1-line block ×8, first 2 shown]
	v_fma_f64 v[171:172], v[50:51], s[18:19], v[99:100]
	v_fma_f64 v[173:174], v[48:49], s[12:13], v[101:102]
	v_fma_f64 v[101:102], v[48:49], s[12:13], -v[101:102]
	v_fma_f64 v[175:176], v[50:51], s[4:5], v[103:104]
	v_fma_f64 v[103:104], v[50:51], s[28:29], v[103:104]
	v_fma_f64 v[179:180], v[50:51], s[36:37], v[107:108]
	v_fma_f64 v[181:182], v[48:49], s[10:11], v[109:110]
	v_fma_f64 v[107:108], v[50:51], s[30:31], v[107:108]
	v_fma_f64 v[109:110], v[48:49], s[10:11], -v[109:110]
	v_fma_f64 v[177:178], v[48:49], s[0:1], v[105:106]
	v_fma_f64 v[105:106], v[48:49], s[0:1], -v[105:106]
	v_fma_f64 v[99:100], v[50:51], s[24:25], v[99:100]
	v_fma_f64 v[183:184], v[50:51], s[34:35], v[28:29]
	;; [unrolled: 1-line block ×3, first 2 shown]
	v_mul_f64 v[145:146], v[66:67], s[24:25]
	v_mul_f64 v[147:148], v[66:67], s[26:27]
	;; [unrolled: 1-line block ×4, first 2 shown]
	v_fma_f64 v[193:194], v[60:61], s[28:29], v[131:132]
	v_fma_f64 v[131:132], v[60:61], s[4:5], v[131:132]
	;; [unrolled: 1-line block ×4, first 2 shown]
	v_fma_f64 v[139:140], v[64:65], s[0:1], -v[139:140]
	v_fma_f64 v[201:202], v[64:65], s[12:13], v[143:144]
	v_fma_f64 v[143:144], v[64:65], s[12:13], -v[143:144]
	v_mul_f64 v[66:67], v[66:67], s[28:29]
	v_mul_f64 v[95:96], v[44:45], s[10:11]
	v_fma_f64 v[199:200], v[64:65], s[16:17], v[141:142]
	v_add_f64 v[18:19], v[40:41], v[18:19]
	v_add_f64 v[16:17], v[34:35], v[16:17]
	v_mul_f64 v[34:35], v[70:71], s[22:23]
	v_fma_f64 v[40:41], v[50:51], s[20:21], v[78:79]
	v_fma_f64 v[70:71], v[48:49], s[16:17], v[97:98]
	;; [unrolled: 1-line block ×3, first 2 shown]
	v_fma_f64 v[97:98], v[48:49], s[16:17], -v[97:98]
	v_fma_f64 v[50:51], v[48:49], s[14:15], v[32:33]
	v_fma_f64 v[32:33], v[48:49], s[14:15], -v[32:33]
	v_fma_f64 v[48:49], v[58:59], s[18:19], v[121:122]
	v_fma_f64 v[121:122], v[58:59], s[24:25], v[121:122]
	;; [unrolled: 1-line block ×12, first 2 shown]
	v_add_f64 v[171:172], v[2:3], v[171:172]
	v_add_f64 v[173:174], v[0:1], v[173:174]
	;; [unrolled: 1-line block ×6, first 2 shown]
	v_fma_f64 v[141:142], v[64:65], s[16:17], -v[141:142]
	v_add_f64 v[175:176], v[2:3], v[175:176]
	v_add_f64 v[105:106], v[0:1], v[105:106]
	;; [unrolled: 1-line block ×6, first 2 shown]
	v_fma_f64 v[203:204], v[64:65], s[10:11], v[62:63]
	v_fma_f64 v[62:63], v[64:65], s[10:11], -v[62:63]
	v_add_f64 v[183:184], v[2:3], v[183:184]
	v_mul_f64 v[117:118], v[44:45], s[16:17]
	v_add_f64 v[18:19], v[18:19], v[22:23]
	v_add_f64 v[16:17], v[16:17], v[20:21]
	v_fma_f64 v[20:21], v[60:61], s[20:21], v[133:134]
	v_fma_f64 v[22:23], v[60:61], s[18:19], v[135:136]
	v_fma_f64 v[133:134], v[60:61], s[24:25], v[135:136]
	v_fma_f64 v[135:136], v[60:61], s[36:37], v[52:53]
	v_fma_f64 v[52:53], v[60:61], s[30:31], v[52:53]
	v_fma_f64 v[60:61], v[64:65], s[14:15], v[137:138]
	v_fma_f64 v[137:138], v[64:65], s[14:15], -v[137:138]
	v_add_f64 v[40:41], v[2:3], v[40:41]
	v_add_f64 v[70:71], v[0:1], v[70:71]
	;; [unrolled: 1-line block ×7, first 2 shown]
	v_mul_f64 v[119:120], v[44:45], s[14:15]
	v_mul_f64 v[153:154], v[44:45], s[0:1]
	;; [unrolled: 1-line block ×6, first 2 shown]
	v_fma_f64 v[64:65], v[68:69], s[12:13], v[145:146]
	v_fma_f64 v[145:146], v[68:69], s[12:13], -v[145:146]
	v_fma_f64 v[32:33], v[68:69], s[10:11], v[149:150]
	v_fma_f64 v[50:51], v[68:69], s[10:11], -v[149:150]
	v_fma_f64 v[149:150], v[68:69], s[16:17], -v[151:152]
	v_add_f64 v[101:102], v[139:140], v[101:102]
	v_mul_f64 v[159:160], v[74:75], s[26:27]
	v_mul_f64 v[74:75], v[74:75], s[24:25]
	v_add_f64 v[105:106], v[141:142], v[105:106]
	v_add_f64 v[99:100], v[131:132], v[99:100]
	v_mul_f64 v[115:116], v[36:37], s[12:13]
	v_add_f64 v[131:132], v[201:202], v[181:182]
	v_mul_f64 v[42:43], v[36:37], s[14:15]
	v_mul_f64 v[36:37], v[36:37], s[16:17]
	v_fma_f64 v[207:208], v[56:57], s[30:31], v[95:96]
	v_fma_f64 v[95:96], v[56:57], s[36:37], v[95:96]
	v_add_f64 v[6:7], v[18:19], v[6:7]
	v_add_f64 v[16:17], v[16:17], v[30:31]
	v_fma_f64 v[18:19], v[68:69], s[14:15], v[147:148]
	v_fma_f64 v[30:31], v[68:69], s[14:15], -v[147:148]
	v_add_f64 v[20:21], v[20:21], v[103:104]
	v_add_f64 v[103:104], v[133:134], v[107:108]
	;; [unrolled: 1-line block ×4, first 2 shown]
	v_fma_f64 v[147:148], v[68:69], s[16:17], v[151:152]
	v_add_f64 v[40:41], v[58:59], v[40:41]
	v_add_f64 v[58:59], v[60:61], v[70:71]
	;; [unrolled: 1-line block ×8, first 2 shown]
	v_fma_f64 v[151:152], v[68:69], s[0:1], v[66:67]
	v_fma_f64 v[66:67], v[68:69], s[0:1], -v[66:67]
	v_add_f64 v[2:3], v[52:53], v[2:3]
	v_add_f64 v[28:29], v[62:63], v[28:29]
	v_add_f64 v[133:134], v[135:136], v[183:184]
	v_add_f64 v[0:1], v[203:204], v[0:1]
	v_fma_f64 v[209:210], v[56:57], s[20:21], v[117:118]
	v_fma_f64 v[117:118], v[56:57], s[22:23], v[117:118]
	;; [unrolled: 1-line block ×4, first 2 shown]
	v_fma_f64 v[135:136], v[76:77], s[10:11], -v[155:156]
	v_fma_f64 v[139:140], v[76:77], s[16:17], -v[157:158]
	v_fma_f64 v[137:138], v[76:77], s[16:17], v[157:158]
	v_fma_f64 v[141:142], v[76:77], s[14:15], v[159:160]
	v_fma_f64 v[143:144], v[76:77], s[14:15], -v[159:160]
	v_fma_f64 v[153:154], v[76:77], s[0:1], v[161:162]
	v_fma_f64 v[157:158], v[76:77], s[12:13], v[74:75]
	v_fma_f64 v[74:75], v[76:77], s[12:13], -v[74:75]
	v_add_f64 v[50:51], v[50:51], v[105:106]
	v_fma_f64 v[68:69], v[54:55], s[4:5], v[111:112]
	v_fma_f64 v[111:112], v[54:55], s[28:29], v[111:112]
	v_add_f64 v[6:7], v[6:7], v[26:27]
	v_add_f64 v[16:17], v[16:17], v[24:25]
	v_fma_f64 v[24:25], v[56:57], s[34:35], v[119:120]
	v_fma_f64 v[26:27], v[56:57], s[26:27], v[119:120]
	;; [unrolled: 1-line block ×5, first 2 shown]
	v_fma_f64 v[155:156], v[76:77], s[0:1], -v[161:162]
	v_add_f64 v[30:31], v[30:31], v[101:102]
	v_add_f64 v[40:41], v[48:49], v[40:41]
	;; [unrolled: 1-line block ×19, first 2 shown]
	v_fma_f64 v[205:206], v[54:55], s[30:31], v[113:114]
	v_fma_f64 v[113:114], v[54:55], s[36:37], v[113:114]
	;; [unrolled: 1-line block ×9, first 2 shown]
	v_fma_f64 v[107:108], v[72:73], s[10:11], -v[165:166]
	v_fma_f64 v[109:110], v[72:73], s[12:13], v[167:168]
	v_add_f64 v[6:7], v[6:7], v[12:13]
	v_add_f64 v[12:13], v[16:17], v[14:15]
	v_fma_f64 v[14:15], v[72:73], s[0:1], v[163:164]
	v_fma_f64 v[16:17], v[72:73], s[0:1], -v[163:164]
	v_fma_f64 v[115:116], v[72:73], s[12:13], -v[167:168]
	v_fma_f64 v[121:122], v[72:73], s[14:15], v[169:170]
	v_fma_f64 v[123:124], v[72:73], s[14:15], -v[169:170]
	v_fma_f64 v[125:126], v[72:73], s[16:17], v[34:35]
	v_fma_f64 v[72:73], v[72:73], s[16:17], -v[34:35]
	v_add_f64 v[34:35], v[207:208], v[40:41]
	v_add_f64 v[40:41], v[56:57], v[48:49]
	;; [unrolled: 1-line block ×44, first 2 shown]
	v_and_b32_e32 v8, 0xffff, v90
	v_lshlrev_b32_e32 v9, 4, v94
	s_delay_alu instid0(VALU_DEP_2) | instskip(NEXT) | instid1(VALU_DEP_1)
	v_mul_u32_u24_e32 v8, 0x1ce0, v8
	v_add3_u32 v8, 0, v8, v9
	ds_store_b128 v8, v[28:31] offset:1344
	ds_store_b128 v8, v[24:27] offset:2016
	;; [unrolled: 1-line block ×9, first 2 shown]
	ds_store_b128 v8, v[46:49]
	ds_store_b128 v8, v[38:41] offset:6720
.LBB0_21:
	s_or_b32 exec_lo, exec_lo, s33
	v_dual_mov_b32 v2, 0 :: v_dual_lshlrev_b32 v1, 1, v84
	s_waitcnt lgkmcnt(0)
	s_barrier
	buffer_gl0_inv
	s_mov_b32 s5, 0xbfebb67a
	v_lshlrev_b64 v[0:1], 4, v[1:2]
	v_mov_b32_e32 v90, v2
	s_delay_alu instid0(VALU_DEP_2) | instskip(NEXT) | instid1(VALU_DEP_1)
	v_add_co_u32 v3, s0, s8, v0
	v_add_co_ci_u32_e64 v4, s0, s9, v1, s0
	s_delay_alu instid0(VALU_DEP_3) | instskip(NEXT) | instid1(VALU_DEP_3)
	v_lshlrev_b64 v[0:1], 4, v[89:90]
	v_add_co_u32 v7, s0, 0x1cc0, v3
	s_delay_alu instid0(VALU_DEP_1) | instskip(NEXT) | instid1(VALU_DEP_3)
	v_add_co_ci_u32_e64 v8, s0, 0, v4, s0
	v_add_co_u32 v5, s0, s8, v0
	s_delay_alu instid0(VALU_DEP_1) | instskip(SKIP_1) | instid1(VALU_DEP_1)
	v_add_co_ci_u32_e64 v6, s0, s9, v1, s0
	v_add_co_u32 v0, s0, 0x1000, v3
	v_add_co_ci_u32_e64 v1, s0, 0, v4, s0
	s_delay_alu instid0(VALU_DEP_4) | instskip(NEXT) | instid1(VALU_DEP_1)
	v_add_co_u32 v11, s0, 0x1cc0, v5
	v_add_co_ci_u32_e64 v12, s0, 0, v6, s0
	v_add_co_u32 v13, s0, 0x1000, v5
	s_delay_alu instid0(VALU_DEP_1)
	v_add_co_ci_u32_e64 v14, s0, 0, v6, s0
	s_clause 0x3
	global_load_b128 v[3:6], v[0:1], off offset:3264
	global_load_b128 v[7:10], v[7:8], off offset:16
	;; [unrolled: 1-line block ×4, first 2 shown]
	v_add_nc_u32_e32 v12, v87, v93
	ds_load_b128 v[21:24], v12
	ds_load_b128 v[25:28], v91 offset:14784
	ds_load_b128 v[29:32], v91 offset:11088
	;; [unrolled: 1-line block ×3, first 2 shown]
	ds_load_b128 v[37:40], v92
	s_mov_b32 s0, 0xe8584caa
	s_mov_b32 s1, 0x3febb67a
	;; [unrolled: 1-line block ×3, first 2 shown]
	s_waitcnt vmcnt(3) lgkmcnt(4)
	v_mul_f64 v[0:1], v[23:24], v[5:6]
	s_waitcnt vmcnt(2) lgkmcnt(3)
	v_mul_f64 v[41:42], v[27:28], v[9:10]
	v_mul_f64 v[5:6], v[21:22], v[5:6]
	;; [unrolled: 1-line block ×3, first 2 shown]
	s_waitcnt vmcnt(1) lgkmcnt(2)
	v_mul_f64 v[43:44], v[31:32], v[15:16]
	s_waitcnt vmcnt(0) lgkmcnt(1)
	v_mul_f64 v[45:46], v[35:36], v[19:20]
	v_mul_f64 v[15:16], v[29:30], v[15:16]
	;; [unrolled: 1-line block ×3, first 2 shown]
	v_fma_f64 v[0:1], v[21:22], v[3:4], -v[0:1]
	v_fma_f64 v[21:22], v[25:26], v[7:8], -v[41:42]
	v_fma_f64 v[23:24], v[23:24], v[3:4], v[5:6]
	v_fma_f64 v[7:8], v[27:28], v[7:8], v[9:10]
	v_fma_f64 v[9:10], v[29:30], v[13:14], -v[43:44]
	v_fma_f64 v[25:26], v[33:34], v[17:18], -v[45:46]
	v_fma_f64 v[13:14], v[31:32], v[13:14], v[15:16]
	v_fma_f64 v[15:16], v[35:36], v[17:18], v[19:20]
	ds_load_b128 v[3:6], v91
	s_waitcnt lgkmcnt(0)
	s_barrier
	buffer_gl0_inv
	v_add_f64 v[31:32], v[3:4], v[0:1]
	v_add_f64 v[17:18], v[0:1], v[21:22]
	v_add_f64 v[0:1], v[0:1], -v[21:22]
	v_add_f64 v[19:20], v[23:24], v[7:8]
	v_add_f64 v[33:34], v[23:24], -v[7:8]
	v_add_f64 v[27:28], v[9:10], v[25:26]
	v_add_f64 v[23:24], v[5:6], v[23:24]
	;; [unrolled: 1-line block ×5, first 2 shown]
	v_add_f64 v[43:44], v[13:14], -v[15:16]
	v_fma_f64 v[17:18], v[17:18], -0.5, v[3:4]
	v_add_f64 v[3:4], v[31:32], v[21:22]
	v_fma_f64 v[19:20], v[19:20], -0.5, v[5:6]
	v_fma_f64 v[27:28], v[27:28], -0.5, v[37:38]
	v_add_f64 v[37:38], v[9:10], -v[25:26]
	v_fma_f64 v[29:30], v[29:30], -0.5, v[39:40]
	v_add_f64 v[5:6], v[23:24], v[7:8]
	v_add_f64 v[9:10], v[41:42], v[15:16]
	;; [unrolled: 1-line block ×3, first 2 shown]
	v_fma_f64 v[13:14], v[33:34], s[0:1], v[17:18]
	v_fma_f64 v[17:18], v[33:34], s[4:5], v[17:18]
	;; [unrolled: 1-line block ×8, first 2 shown]
	s_add_u32 s1, s8, 0x5680
	s_addc_u32 s4, s9, 0
	s_mov_b32 s5, exec_lo
                                        ; implicit-def: $vgpr0_vgpr1
	ds_store_b128 v91, v[3:6]
	ds_store_b128 v91, v[13:16] offset:7392
	ds_store_b128 v91, v[17:20] offset:14784
	ds_store_b128 v92, v[7:10]
	ds_store_b128 v92, v[21:24] offset:7392
	ds_store_b128 v92, v[25:28] offset:14784
	s_waitcnt lgkmcnt(0)
	s_barrier
	buffer_gl0_inv
	ds_load_b128 v[4:7], v91
	v_sub_nc_u32_e32 v13, 0, v85
                                        ; implicit-def: $vgpr8_vgpr9
                                        ; implicit-def: $vgpr10_vgpr11
	v_cmpx_ne_u32_e32 0, v84
	s_xor_b32 s5, exec_lo, s5
	s_cbranch_execz .LBB0_23
; %bb.22:
	v_mov_b32_e32 v85, v2
	s_delay_alu instid0(VALU_DEP_1) | instskip(NEXT) | instid1(VALU_DEP_1)
	v_lshlrev_b64 v[0:1], 4, v[84:85]
	v_add_co_u32 v0, s0, s1, v0
	s_delay_alu instid0(VALU_DEP_1)
	v_add_co_ci_u32_e64 v1, s0, s4, v1, s0
	global_load_b128 v[14:17], v[0:1], off
	ds_load_b128 v[0:3], v13 offset:22176
	s_waitcnt lgkmcnt(0)
	v_add_f64 v[8:9], v[4:5], -v[0:1]
	v_add_f64 v[10:11], v[6:7], v[2:3]
	v_add_f64 v[2:3], v[6:7], -v[2:3]
	v_add_f64 v[0:1], v[4:5], v[0:1]
	s_delay_alu instid0(VALU_DEP_4) | instskip(NEXT) | instid1(VALU_DEP_4)
	v_mul_f64 v[6:7], v[8:9], 0.5
	v_mul_f64 v[4:5], v[10:11], 0.5
	s_delay_alu instid0(VALU_DEP_4) | instskip(SKIP_1) | instid1(VALU_DEP_3)
	v_mul_f64 v[2:3], v[2:3], 0.5
	s_waitcnt vmcnt(0)
	v_mul_f64 v[8:9], v[6:7], v[16:17]
	s_delay_alu instid0(VALU_DEP_2) | instskip(SKIP_1) | instid1(VALU_DEP_3)
	v_fma_f64 v[10:11], v[4:5], v[16:17], v[2:3]
	v_fma_f64 v[2:3], v[4:5], v[16:17], -v[2:3]
	v_fma_f64 v[18:19], v[0:1], 0.5, v[8:9]
	v_fma_f64 v[0:1], v[0:1], 0.5, -v[8:9]
	s_delay_alu instid0(VALU_DEP_4) | instskip(NEXT) | instid1(VALU_DEP_4)
	v_fma_f64 v[10:11], -v[14:15], v[6:7], v[10:11]
	v_fma_f64 v[2:3], -v[14:15], v[6:7], v[2:3]
	s_delay_alu instid0(VALU_DEP_4) | instskip(NEXT) | instid1(VALU_DEP_4)
	v_fma_f64 v[8:9], v[4:5], v[14:15], v[18:19]
	v_fma_f64 v[0:1], -v[4:5], v[14:15], v[0:1]
                                        ; implicit-def: $vgpr4_vgpr5
.LBB0_23:
	s_and_not1_saveexec_b32 s0, s5
	s_cbranch_execz .LBB0_25
; %bb.24:
	s_waitcnt lgkmcnt(0)
	v_add_f64 v[8:9], v[4:5], v[6:7]
	v_add_f64 v[0:1], v[4:5], -v[6:7]
	v_mov_b32_e32 v6, 0
	v_mov_b32_e32 v10, 0
	;; [unrolled: 1-line block ×3, first 2 shown]
	s_delay_alu instid0(VALU_DEP_2)
	v_mov_b32_e32 v2, v10
	ds_load_b64 v[4:5], v6 offset:11096
	v_mov_b32_e32 v3, v11
	s_waitcnt lgkmcnt(0)
	v_xor_b32_e32 v5, 0x80000000, v5
	ds_store_b64 v6, v[4:5] offset:11096
.LBB0_25:
	s_or_b32 exec_lo, exec_lo, s0
	v_mov_b32_e32 v87, 0
	s_waitcnt lgkmcnt(0)
	s_delay_alu instid0(VALU_DEP_1) | instskip(SKIP_1) | instid1(VALU_DEP_1)
	v_lshlrev_b64 v[4:5], 4, v[86:87]
	v_mov_b32_e32 v89, v87
	v_lshlrev_b64 v[14:15], 4, v[88:89]
	s_delay_alu instid0(VALU_DEP_3) | instskip(NEXT) | instid1(VALU_DEP_1)
	v_add_co_u32 v4, s0, s1, v4
	v_add_co_ci_u32_e64 v5, s0, s4, v5, s0
	s_delay_alu instid0(VALU_DEP_3)
	v_add_co_u32 v14, s0, s1, v14
	global_load_b128 v[4:7], v[4:5], off
	v_add_co_ci_u32_e64 v15, s0, s4, v15, s0
	global_load_b128 v[14:17], v[14:15], off
	ds_store_2addr_b64 v91, v[8:9], v[10:11] offset1:1
	ds_store_b128 v13, v[0:3] offset:22176
	ds_load_b128 v[0:3], v92
	ds_load_b128 v[8:11], v13 offset:18480
	s_waitcnt lgkmcnt(0)
	v_add_f64 v[18:19], v[0:1], -v[8:9]
	v_add_f64 v[20:21], v[2:3], v[10:11]
	v_add_f64 v[2:3], v[2:3], -v[10:11]
	v_add_f64 v[0:1], v[0:1], v[8:9]
	s_delay_alu instid0(VALU_DEP_4) | instskip(NEXT) | instid1(VALU_DEP_4)
	v_mul_f64 v[10:11], v[18:19], 0.5
	v_mul_f64 v[18:19], v[20:21], 0.5
	s_delay_alu instid0(VALU_DEP_4) | instskip(SKIP_1) | instid1(VALU_DEP_3)
	v_mul_f64 v[2:3], v[2:3], 0.5
	s_waitcnt vmcnt(1)
	v_mul_f64 v[8:9], v[10:11], v[6:7]
	s_delay_alu instid0(VALU_DEP_2) | instskip(SKIP_1) | instid1(VALU_DEP_3)
	v_fma_f64 v[20:21], v[18:19], v[6:7], v[2:3]
	v_fma_f64 v[2:3], v[18:19], v[6:7], -v[2:3]
	v_fma_f64 v[6:7], v[0:1], 0.5, v[8:9]
	v_fma_f64 v[0:1], v[0:1], 0.5, -v[8:9]
	s_delay_alu instid0(VALU_DEP_4) | instskip(NEXT) | instid1(VALU_DEP_4)
	v_fma_f64 v[8:9], -v[4:5], v[10:11], v[20:21]
	v_fma_f64 v[2:3], -v[4:5], v[10:11], v[2:3]
	s_delay_alu instid0(VALU_DEP_4) | instskip(NEXT) | instid1(VALU_DEP_4)
	v_fma_f64 v[6:7], v[18:19], v[4:5], v[6:7]
	v_fma_f64 v[0:1], -v[18:19], v[4:5], v[0:1]
	ds_store_2addr_b64 v92, v[6:7], v[8:9] offset1:1
	ds_store_b128 v13, v[0:3] offset:18480
	ds_load_b128 v[0:3], v12
	ds_load_b128 v[4:7], v13 offset:14784
	s_waitcnt lgkmcnt(0)
	v_add_f64 v[8:9], v[0:1], -v[4:5]
	v_add_f64 v[10:11], v[2:3], v[6:7]
	v_add_f64 v[2:3], v[2:3], -v[6:7]
	v_add_f64 v[0:1], v[0:1], v[4:5]
	s_delay_alu instid0(VALU_DEP_4) | instskip(NEXT) | instid1(VALU_DEP_4)
	v_mul_f64 v[6:7], v[8:9], 0.5
	v_mul_f64 v[8:9], v[10:11], 0.5
	s_delay_alu instid0(VALU_DEP_4) | instskip(SKIP_1) | instid1(VALU_DEP_3)
	v_mul_f64 v[2:3], v[2:3], 0.5
	s_waitcnt vmcnt(0)
	v_mul_f64 v[4:5], v[6:7], v[16:17]
	s_delay_alu instid0(VALU_DEP_2) | instskip(SKIP_1) | instid1(VALU_DEP_3)
	v_fma_f64 v[10:11], v[8:9], v[16:17], v[2:3]
	v_fma_f64 v[2:3], v[8:9], v[16:17], -v[2:3]
	v_fma_f64 v[16:17], v[0:1], 0.5, v[4:5]
	v_fma_f64 v[0:1], v[0:1], 0.5, -v[4:5]
	s_delay_alu instid0(VALU_DEP_4) | instskip(NEXT) | instid1(VALU_DEP_4)
	v_fma_f64 v[4:5], -v[14:15], v[6:7], v[10:11]
	v_fma_f64 v[2:3], -v[14:15], v[6:7], v[2:3]
	s_delay_alu instid0(VALU_DEP_4) | instskip(NEXT) | instid1(VALU_DEP_4)
	v_fma_f64 v[6:7], v[8:9], v[14:15], v[16:17]
	v_fma_f64 v[0:1], -v[8:9], v[14:15], v[0:1]
	ds_store_b64 v12, v[4:5] offset:8
	ds_store_b64 v13, v[2:3] offset:14792
	ds_store_b64 v12, v[6:7]
	ds_store_b64 v13, v[0:1] offset:14784
	s_waitcnt lgkmcnt(0)
	s_barrier
	buffer_gl0_inv
	s_and_saveexec_b32 s0, vcc_lo
	s_cbranch_execz .LBB0_28
; %bb.26:
	v_mul_lo_u32 v2, s3, v82
	v_mul_lo_u32 v3, s2, v83
	v_mad_u64_u32 v[0:1], null, s2, v82, 0
	v_lshl_add_u32 v16, v84, 4, 0
	v_dual_mov_b32 v85, v87 :: v_dual_add_nc_u32 v86, 0xe7, v84
	v_lshlrev_b64 v[10:11], 4, v[80:81]
	s_delay_alu instid0(VALU_DEP_4)
	v_add3_u32 v1, v1, v3, v2
	ds_load_b128 v[2:5], v16
	ds_load_b128 v[6:9], v16 offset:3696
	v_lshlrev_b64 v[12:13], 4, v[84:85]
	v_lshlrev_b64 v[14:15], 4, v[86:87]
	v_add_nc_u32_e32 v86, 0x1ce, v84
	v_lshlrev_b64 v[0:1], 4, v[0:1]
	s_delay_alu instid0(VALU_DEP_1) | instskip(NEXT) | instid1(VALU_DEP_2)
	v_add_co_u32 v0, vcc_lo, s6, v0
	v_add_co_ci_u32_e32 v1, vcc_lo, s7, v1, vcc_lo
	s_delay_alu instid0(VALU_DEP_2) | instskip(NEXT) | instid1(VALU_DEP_2)
	v_add_co_u32 v0, vcc_lo, v0, v10
	v_add_co_ci_u32_e32 v1, vcc_lo, v1, v11, vcc_lo
	s_delay_alu instid0(VALU_DEP_2) | instskip(NEXT) | instid1(VALU_DEP_2)
	v_add_co_u32 v10, vcc_lo, v0, v12
	v_add_co_ci_u32_e32 v11, vcc_lo, v1, v13, vcc_lo
	v_add_co_u32 v12, vcc_lo, v0, v14
	v_add_co_ci_u32_e32 v13, vcc_lo, v1, v15, vcc_lo
	v_lshlrev_b64 v[14:15], 4, v[86:87]
	v_add_nc_u32_e32 v86, 0x2b5, v84
	s_waitcnt lgkmcnt(1)
	global_store_b128 v[10:11], v[2:5], off
	s_waitcnt lgkmcnt(0)
	global_store_b128 v[12:13], v[6:9], off
	v_lshlrev_b64 v[20:21], 4, v[86:87]
	v_add_nc_u32_e32 v86, 0x39c, v84
	v_add_co_u32 v18, vcc_lo, v0, v14
	v_add_co_ci_u32_e32 v19, vcc_lo, v1, v15, vcc_lo
	ds_load_b128 v[2:5], v16 offset:7392
	ds_load_b128 v[6:9], v16 offset:11088
	;; [unrolled: 1-line block ×4, first 2 shown]
	v_lshlrev_b64 v[22:23], 4, v[86:87]
	v_add_nc_u32_e32 v86, 0x483, v84
	v_add_co_u32 v20, vcc_lo, v0, v20
	v_add_co_ci_u32_e32 v21, vcc_lo, v1, v21, vcc_lo
	s_delay_alu instid0(VALU_DEP_3) | instskip(SKIP_2) | instid1(VALU_DEP_3)
	v_lshlrev_b64 v[24:25], 4, v[86:87]
	v_add_co_u32 v22, vcc_lo, v0, v22
	v_add_co_ci_u32_e32 v23, vcc_lo, v1, v23, vcc_lo
	v_add_co_u32 v24, vcc_lo, v0, v24
	s_delay_alu instid0(VALU_DEP_4)
	v_add_co_ci_u32_e32 v25, vcc_lo, v1, v25, vcc_lo
	v_cmp_eq_u32_e32 vcc_lo, 0xe6, v84
	s_waitcnt lgkmcnt(3)
	global_store_b128 v[18:19], v[2:5], off
	s_waitcnt lgkmcnt(2)
	global_store_b128 v[20:21], v[6:9], off
	;; [unrolled: 2-line block ×4, first 2 shown]
	s_and_b32 exec_lo, exec_lo, vcc_lo
	s_cbranch_execz .LBB0_28
; %bb.27:
	v_mov_b32_e32 v2, 0
	v_add_co_u32 v0, vcc_lo, 0x5000, v0
	v_add_co_ci_u32_e32 v1, vcc_lo, 0, v1, vcc_lo
	ds_load_b128 v[2:5], v2 offset:22176
	s_waitcnt lgkmcnt(0)
	global_store_b128 v[0:1], v[2:5], off offset:1696
.LBB0_28:
	s_nop 0
	s_sendmsg sendmsg(MSG_DEALLOC_VGPRS)
	s_endpgm
	.section	.rodata,"a",@progbits
	.p2align	6, 0x0
	.amdhsa_kernel fft_rtc_fwd_len1386_factors_2_7_3_11_3_wgs_231_tpt_231_halfLds_dp_op_CI_CI_unitstride_sbrr_R2C_dirReg
		.amdhsa_group_segment_fixed_size 0
		.amdhsa_private_segment_fixed_size 0
		.amdhsa_kernarg_size 104
		.amdhsa_user_sgpr_count 15
		.amdhsa_user_sgpr_dispatch_ptr 0
		.amdhsa_user_sgpr_queue_ptr 0
		.amdhsa_user_sgpr_kernarg_segment_ptr 1
		.amdhsa_user_sgpr_dispatch_id 0
		.amdhsa_user_sgpr_private_segment_size 0
		.amdhsa_wavefront_size32 1
		.amdhsa_uses_dynamic_stack 0
		.amdhsa_enable_private_segment 0
		.amdhsa_system_sgpr_workgroup_id_x 1
		.amdhsa_system_sgpr_workgroup_id_y 0
		.amdhsa_system_sgpr_workgroup_id_z 0
		.amdhsa_system_sgpr_workgroup_info 0
		.amdhsa_system_vgpr_workitem_id 0
		.amdhsa_next_free_vgpr 211
		.amdhsa_next_free_sgpr 38
		.amdhsa_reserve_vcc 1
		.amdhsa_float_round_mode_32 0
		.amdhsa_float_round_mode_16_64 0
		.amdhsa_float_denorm_mode_32 3
		.amdhsa_float_denorm_mode_16_64 3
		.amdhsa_dx10_clamp 1
		.amdhsa_ieee_mode 1
		.amdhsa_fp16_overflow 0
		.amdhsa_workgroup_processor_mode 1
		.amdhsa_memory_ordered 1
		.amdhsa_forward_progress 0
		.amdhsa_shared_vgpr_count 0
		.amdhsa_exception_fp_ieee_invalid_op 0
		.amdhsa_exception_fp_denorm_src 0
		.amdhsa_exception_fp_ieee_div_zero 0
		.amdhsa_exception_fp_ieee_overflow 0
		.amdhsa_exception_fp_ieee_underflow 0
		.amdhsa_exception_fp_ieee_inexact 0
		.amdhsa_exception_int_div_zero 0
	.end_amdhsa_kernel
	.text
.Lfunc_end0:
	.size	fft_rtc_fwd_len1386_factors_2_7_3_11_3_wgs_231_tpt_231_halfLds_dp_op_CI_CI_unitstride_sbrr_R2C_dirReg, .Lfunc_end0-fft_rtc_fwd_len1386_factors_2_7_3_11_3_wgs_231_tpt_231_halfLds_dp_op_CI_CI_unitstride_sbrr_R2C_dirReg
                                        ; -- End function
	.section	.AMDGPU.csdata,"",@progbits
; Kernel info:
; codeLenInByte = 9452
; NumSgprs: 40
; NumVgprs: 211
; ScratchSize: 0
; MemoryBound: 0
; FloatMode: 240
; IeeeMode: 1
; LDSByteSize: 0 bytes/workgroup (compile time only)
; SGPRBlocks: 4
; VGPRBlocks: 26
; NumSGPRsForWavesPerEU: 40
; NumVGPRsForWavesPerEU: 211
; Occupancy: 7
; WaveLimiterHint : 1
; COMPUTE_PGM_RSRC2:SCRATCH_EN: 0
; COMPUTE_PGM_RSRC2:USER_SGPR: 15
; COMPUTE_PGM_RSRC2:TRAP_HANDLER: 0
; COMPUTE_PGM_RSRC2:TGID_X_EN: 1
; COMPUTE_PGM_RSRC2:TGID_Y_EN: 0
; COMPUTE_PGM_RSRC2:TGID_Z_EN: 0
; COMPUTE_PGM_RSRC2:TIDIG_COMP_CNT: 0
	.text
	.p2alignl 7, 3214868480
	.fill 96, 4, 3214868480
	.type	__hip_cuid_61d333200b16f2f9,@object ; @__hip_cuid_61d333200b16f2f9
	.section	.bss,"aw",@nobits
	.globl	__hip_cuid_61d333200b16f2f9
__hip_cuid_61d333200b16f2f9:
	.byte	0                               ; 0x0
	.size	__hip_cuid_61d333200b16f2f9, 1

	.ident	"AMD clang version 19.0.0git (https://github.com/RadeonOpenCompute/llvm-project roc-6.4.0 25133 c7fe45cf4b819c5991fe208aaa96edf142730f1d)"
	.section	".note.GNU-stack","",@progbits
	.addrsig
	.addrsig_sym __hip_cuid_61d333200b16f2f9
	.amdgpu_metadata
---
amdhsa.kernels:
  - .args:
      - .actual_access:  read_only
        .address_space:  global
        .offset:         0
        .size:           8
        .value_kind:     global_buffer
      - .offset:         8
        .size:           8
        .value_kind:     by_value
      - .actual_access:  read_only
        .address_space:  global
        .offset:         16
        .size:           8
        .value_kind:     global_buffer
      - .actual_access:  read_only
        .address_space:  global
        .offset:         24
        .size:           8
        .value_kind:     global_buffer
      - .actual_access:  read_only
        .address_space:  global
        .offset:         32
        .size:           8
        .value_kind:     global_buffer
      - .offset:         40
        .size:           8
        .value_kind:     by_value
      - .actual_access:  read_only
        .address_space:  global
        .offset:         48
        .size:           8
        .value_kind:     global_buffer
      - .actual_access:  read_only
        .address_space:  global
        .offset:         56
        .size:           8
        .value_kind:     global_buffer
      - .offset:         64
        .size:           4
        .value_kind:     by_value
      - .actual_access:  read_only
        .address_space:  global
        .offset:         72
        .size:           8
        .value_kind:     global_buffer
      - .actual_access:  read_only
        .address_space:  global
        .offset:         80
        .size:           8
        .value_kind:     global_buffer
      - .actual_access:  read_only
        .address_space:  global
        .offset:         88
        .size:           8
        .value_kind:     global_buffer
      - .actual_access:  write_only
        .address_space:  global
        .offset:         96
        .size:           8
        .value_kind:     global_buffer
    .group_segment_fixed_size: 0
    .kernarg_segment_align: 8
    .kernarg_segment_size: 104
    .language:       OpenCL C
    .language_version:
      - 2
      - 0
    .max_flat_workgroup_size: 231
    .name:           fft_rtc_fwd_len1386_factors_2_7_3_11_3_wgs_231_tpt_231_halfLds_dp_op_CI_CI_unitstride_sbrr_R2C_dirReg
    .private_segment_fixed_size: 0
    .sgpr_count:     40
    .sgpr_spill_count: 0
    .symbol:         fft_rtc_fwd_len1386_factors_2_7_3_11_3_wgs_231_tpt_231_halfLds_dp_op_CI_CI_unitstride_sbrr_R2C_dirReg.kd
    .uniform_work_group_size: 1
    .uses_dynamic_stack: false
    .vgpr_count:     211
    .vgpr_spill_count: 0
    .wavefront_size: 32
    .workgroup_processor_mode: 1
amdhsa.target:   amdgcn-amd-amdhsa--gfx1100
amdhsa.version:
  - 1
  - 2
...

	.end_amdgpu_metadata
